;; amdgpu-corpus repo=ROCm/rocFFT kind=compiled arch=gfx906 opt=O3
	.text
	.amdgcn_target "amdgcn-amd-amdhsa--gfx906"
	.amdhsa_code_object_version 6
	.protected	fft_rtc_back_len200_factors_5_8_5_wgs_400_tpt_40_half_op_CI_CI_sbcc_twdbase6_3step ; -- Begin function fft_rtc_back_len200_factors_5_8_5_wgs_400_tpt_40_half_op_CI_CI_sbcc_twdbase6_3step
	.globl	fft_rtc_back_len200_factors_5_8_5_wgs_400_tpt_40_half_op_CI_CI_sbcc_twdbase6_3step
	.p2align	8
	.type	fft_rtc_back_len200_factors_5_8_5_wgs_400_tpt_40_half_op_CI_CI_sbcc_twdbase6_3step,@function
fft_rtc_back_len200_factors_5_8_5_wgs_400_tpt_40_half_op_CI_CI_sbcc_twdbase6_3step: ; @fft_rtc_back_len200_factors_5_8_5_wgs_400_tpt_40_half_op_CI_CI_sbcc_twdbase6_3step
; %bb.0:
	s_load_dwordx8 s[8:15], s[4:5], 0x8
	s_load_dwordx2 s[34:35], s[4:5], 0x28
	s_movk_i32 s0, 0xc0
	v_cmp_gt_u32_e32 vcc, s0, v0
	s_and_saveexec_b64 s[0:1], vcc
	s_cbranch_execz .LBB0_2
; %bb.1:
	v_lshlrev_b32_e32 v1, 2, v0
	s_waitcnt lgkmcnt(0)
	global_load_dword v2, v1, s[8:9]
	v_add_u32_e32 v1, 0, v1
	s_waitcnt vmcnt(0)
	ds_write_b32 v1, v2 offset:8000
.LBB0_2:
	s_or_b64 exec, exec, s[0:1]
	s_waitcnt lgkmcnt(0)
	s_load_dwordx2 s[30:31], s[12:13], 0x8
	s_mov_b32 s7, 0
	s_waitcnt lgkmcnt(0)
	s_add_u32 s0, s30, -1
	s_addc_u32 s1, s31, -1
	s_add_u32 s2, 0, 0x99986000
	s_addc_u32 s3, 0, 0x59
	s_mul_hi_u32 s9, s2, -10
	s_add_i32 s3, s3, 0x19999940
	s_sub_i32 s9, s9, s2
	s_mul_i32 s18, s3, -10
	s_mul_i32 s8, s2, -10
	s_add_i32 s9, s9, s18
	s_mul_hi_u32 s16, s3, s8
	s_mul_i32 s17, s3, s8
	s_mul_i32 s19, s2, s9
	s_mul_hi_u32 s8, s2, s8
	s_mul_hi_u32 s18, s2, s9
	s_add_u32 s8, s8, s19
	s_addc_u32 s18, 0, s18
	s_add_u32 s8, s8, s17
	s_mul_hi_u32 s19, s3, s9
	s_addc_u32 s8, s18, s16
	s_addc_u32 s16, s19, 0
	s_mul_i32 s9, s3, s9
	s_add_u32 s8, s8, s9
	v_mov_b32_e32 v1, s8
	s_addc_u32 s9, 0, s16
	v_add_co_u32_e32 v1, vcc, s2, v1
	s_cmp_lg_u64 vcc, 0
	s_addc_u32 s2, s3, s9
	v_readfirstlane_b32 s9, v1
	s_mul_i32 s8, s0, s2
	s_mul_hi_u32 s16, s0, s9
	s_mul_hi_u32 s3, s0, s2
	s_add_u32 s8, s16, s8
	s_addc_u32 s3, 0, s3
	s_mul_hi_u32 s17, s1, s9
	s_mul_i32 s9, s1, s9
	s_add_u32 s8, s8, s9
	s_mul_hi_u32 s16, s1, s2
	s_addc_u32 s3, s3, s17
	s_addc_u32 s8, s16, 0
	s_mul_i32 s2, s1, s2
	s_add_u32 s2, s3, s2
	s_addc_u32 s3, 0, s8
	s_add_u32 s8, s2, 1
	s_addc_u32 s9, s3, 0
	s_add_u32 s16, s2, 2
	s_mul_i32 s18, s3, 10
	s_mul_hi_u32 s19, s2, 10
	s_addc_u32 s17, s3, 0
	s_add_i32 s19, s19, s18
	s_mul_i32 s18, s2, 10
	v_mov_b32_e32 v1, s18
	v_sub_co_u32_e32 v1, vcc, s0, v1
	s_cmp_lg_u64 vcc, 0
	s_subb_u32 s0, s1, s19
	v_subrev_co_u32_e32 v2, vcc, 10, v1
	s_cmp_lg_u64 vcc, 0
	s_subb_u32 s1, s0, 0
	v_readfirstlane_b32 s18, v2
	s_cmp_gt_u32 s18, 9
	s_cselect_b32 s18, -1, 0
	s_cmp_eq_u32 s1, 0
	s_cselect_b32 s1, s18, -1
	s_cmp_lg_u32 s1, 0
	s_cselect_b32 s1, s16, s8
	s_cselect_b32 s8, s17, s9
	v_readfirstlane_b32 s9, v1
	s_cmp_gt_u32 s9, 9
	s_cselect_b32 s9, -1, 0
	s_cmp_eq_u32 s0, 0
	s_cselect_b32 s0, s9, -1
	s_cmp_lg_u32 s0, 0
	s_cselect_b32 s1, s1, s2
	s_cselect_b32 s0, s8, s3
	s_add_u32 s36, s1, 1
	s_addc_u32 s37, s0, 0
	v_mov_b32_e32 v1, s36
	v_mov_b32_e32 v2, s37
	v_cmp_lt_u64_e32 vcc, s[6:7], v[1:2]
	s_mov_b64 s[8:9], 0
	s_cbranch_vccnz .LBB0_4
; %bb.3:
	v_cvt_f32_u32_e32 v1, s36
	s_sub_i32 s0, 0, s36
	s_mov_b32 s9, s7
	v_rcp_iflag_f32_e32 v1, v1
	v_mul_f32_e32 v1, 0x4f7ffffe, v1
	v_cvt_u32_f32_e32 v1, v1
	v_readfirstlane_b32 s1, v1
	s_mul_i32 s0, s0, s1
	s_mul_hi_u32 s0, s1, s0
	s_add_i32 s1, s1, s0
	s_mul_hi_u32 s0, s6, s1
	s_mul_i32 s2, s0, s36
	s_sub_i32 s2, s6, s2
	s_add_i32 s1, s0, 1
	s_sub_i32 s3, s2, s36
	s_cmp_ge_u32 s2, s36
	s_cselect_b32 s0, s1, s0
	s_cselect_b32 s2, s3, s2
	s_add_i32 s1, s0, 1
	s_cmp_ge_u32 s2, s36
	s_cselect_b32 s8, s1, s0
.LBB0_4:
	s_mul_i32 s0, s8, s37
	s_mul_hi_u32 s1, s8, s36
	s_add_i32 s1, s1, s0
	s_mul_i32 s0, s8, s36
	s_load_dwordx4 s[20:23], s[4:5], 0x60
	s_load_dwordx2 s[28:29], s[4:5], 0x0
	s_load_dwordx4 s[24:27], s[14:15], 0x0
	s_load_dwordx4 s[16:19], s[34:35], 0x0
	s_sub_u32 s50, s6, s0
	s_subb_u32 s0, 0, s1
	s_mul_i32 s0, s0, 10
	s_mul_hi_u32 s33, s50, 10
	s_add_i32 s33, s33, s0
	s_mul_i32 s50, s50, 10
	s_waitcnt lgkmcnt(0)
	s_mul_i32 s0, s26, s33
	s_mul_hi_u32 s1, s26, s50
	s_add_i32 s0, s1, s0
	s_mul_i32 s1, s27, s50
	s_add_i32 s5, s0, s1
	s_mul_i32 s0, s18, s33
	s_mul_hi_u32 s1, s18, s50
	s_add_i32 s0, s1, s0
	s_mul_i32 s1, s19, s50
	s_add_i32 s3, s0, s1
	v_cmp_lt_u64_e64 s[0:1], s[10:11], 3
	s_mul_i32 s4, s26, s50
	s_mul_i32 s2, s18, s50
	s_and_b64 vcc, exec, s[0:1]
	s_cbranch_vccnz .LBB0_14
; %bb.5:
	s_add_u32 s38, s34, 16
	s_addc_u32 s39, s35, 0
	s_add_u32 s40, s14, 16
	s_addc_u32 s41, s15, 0
	s_add_u32 s12, s12, 16
	v_mov_b32_e32 v1, s10
	s_addc_u32 s13, s13, 0
	s_mov_b64 s[42:43], 2
	s_mov_b32 s44, 0
	v_mov_b32_e32 v2, s11
.LBB0_6:                                ; =>This Inner Loop Header: Depth=1
	s_load_dwordx2 s[46:47], s[12:13], 0x0
	s_waitcnt lgkmcnt(0)
	s_or_b64 s[0:1], s[8:9], s[46:47]
	s_mov_b32 s45, s1
	s_cmp_lg_u64 s[44:45], 0
	s_cbranch_scc0 .LBB0_11
; %bb.7:                                ;   in Loop: Header=BB0_6 Depth=1
	v_cvt_f32_u32_e32 v3, s46
	v_cvt_f32_u32_e32 v4, s47
	s_sub_u32 s0, 0, s46
	s_subb_u32 s1, 0, s47
	v_mac_f32_e32 v3, 0x4f800000, v4
	v_rcp_f32_e32 v3, v3
	v_mul_f32_e32 v3, 0x5f7ffffc, v3
	v_mul_f32_e32 v4, 0x2f800000, v3
	v_trunc_f32_e32 v4, v4
	v_mac_f32_e32 v3, 0xcf800000, v4
	v_cvt_u32_f32_e32 v4, v4
	v_cvt_u32_f32_e32 v3, v3
	v_readfirstlane_b32 s45, v4
	v_readfirstlane_b32 s48, v3
	s_mul_i32 s49, s0, s45
	s_mul_hi_u32 s52, s0, s48
	s_mul_i32 s51, s1, s48
	s_add_i32 s49, s52, s49
	s_mul_i32 s53, s0, s48
	s_add_i32 s49, s49, s51
	s_mul_hi_u32 s51, s48, s49
	s_mul_i32 s52, s48, s49
	s_mul_hi_u32 s48, s48, s53
	s_add_u32 s48, s48, s52
	s_addc_u32 s51, 0, s51
	s_mul_hi_u32 s54, s45, s53
	s_mul_i32 s53, s45, s53
	s_add_u32 s48, s48, s53
	s_mul_hi_u32 s52, s45, s49
	s_addc_u32 s48, s51, s54
	s_addc_u32 s51, s52, 0
	s_mul_i32 s49, s45, s49
	s_add_u32 s48, s48, s49
	s_addc_u32 s49, 0, s51
	v_add_co_u32_e32 v3, vcc, s48, v3
	s_cmp_lg_u64 vcc, 0
	s_addc_u32 s45, s45, s49
	v_readfirstlane_b32 s49, v3
	s_mul_i32 s48, s0, s45
	s_mul_hi_u32 s51, s0, s49
	s_add_i32 s48, s51, s48
	s_mul_i32 s1, s1, s49
	s_add_i32 s48, s48, s1
	s_mul_i32 s0, s0, s49
	s_mul_hi_u32 s51, s45, s0
	s_mul_i32 s52, s45, s0
	s_mul_i32 s54, s49, s48
	s_mul_hi_u32 s0, s49, s0
	s_mul_hi_u32 s53, s49, s48
	s_add_u32 s0, s0, s54
	s_addc_u32 s49, 0, s53
	s_add_u32 s0, s0, s52
	s_mul_hi_u32 s1, s45, s48
	s_addc_u32 s0, s49, s51
	s_addc_u32 s1, s1, 0
	s_mul_i32 s48, s45, s48
	s_add_u32 s0, s0, s48
	s_addc_u32 s1, 0, s1
	v_add_co_u32_e32 v3, vcc, s0, v3
	s_cmp_lg_u64 vcc, 0
	s_addc_u32 s0, s45, s1
	v_readfirstlane_b32 s48, v3
	s_mul_i32 s45, s8, s0
	s_mul_hi_u32 s49, s8, s48
	s_mul_hi_u32 s1, s8, s0
	s_add_u32 s45, s49, s45
	s_addc_u32 s1, 0, s1
	s_mul_hi_u32 s51, s9, s48
	s_mul_i32 s48, s9, s48
	s_add_u32 s45, s45, s48
	s_mul_hi_u32 s49, s9, s0
	s_addc_u32 s1, s1, s51
	s_addc_u32 s45, s49, 0
	s_mul_i32 s0, s9, s0
	s_add_u32 s48, s1, s0
	s_addc_u32 s45, 0, s45
	s_mul_i32 s0, s46, s45
	s_mul_hi_u32 s1, s46, s48
	s_add_i32 s0, s1, s0
	s_mul_i32 s1, s47, s48
	s_add_i32 s49, s0, s1
	s_mul_i32 s1, s46, s48
	v_mov_b32_e32 v3, s1
	s_sub_i32 s0, s9, s49
	v_sub_co_u32_e32 v3, vcc, s8, v3
	s_cmp_lg_u64 vcc, 0
	s_subb_u32 s51, s0, s47
	v_subrev_co_u32_e64 v4, s[0:1], s46, v3
	s_cmp_lg_u64 s[0:1], 0
	s_subb_u32 s0, s51, 0
	s_cmp_ge_u32 s0, s47
	v_readfirstlane_b32 s51, v4
	s_cselect_b32 s1, -1, 0
	s_cmp_ge_u32 s51, s46
	s_cselect_b32 s51, -1, 0
	s_cmp_eq_u32 s0, s47
	s_cselect_b32 s0, s51, s1
	s_add_u32 s1, s48, 1
	s_addc_u32 s51, s45, 0
	s_add_u32 s52, s48, 2
	s_addc_u32 s53, s45, 0
	s_cmp_lg_u32 s0, 0
	s_cselect_b32 s0, s52, s1
	s_cselect_b32 s1, s53, s51
	s_cmp_lg_u64 vcc, 0
	s_subb_u32 s49, s9, s49
	s_cmp_ge_u32 s49, s47
	v_readfirstlane_b32 s52, v3
	s_cselect_b32 s51, -1, 0
	s_cmp_ge_u32 s52, s46
	s_cselect_b32 s52, -1, 0
	s_cmp_eq_u32 s49, s47
	s_cselect_b32 s49, s52, s51
	s_cmp_lg_u32 s49, 0
	s_cselect_b32 s1, s1, s45
	s_cselect_b32 s0, s0, s48
	s_cbranch_execnz .LBB0_9
.LBB0_8:                                ;   in Loop: Header=BB0_6 Depth=1
	v_cvt_f32_u32_e32 v3, s46
	s_sub_i32 s0, 0, s46
	v_rcp_iflag_f32_e32 v3, v3
	v_mul_f32_e32 v3, 0x4f7ffffe, v3
	v_cvt_u32_f32_e32 v3, v3
	v_readfirstlane_b32 s1, v3
	s_mul_i32 s0, s0, s1
	s_mul_hi_u32 s0, s1, s0
	s_add_i32 s1, s1, s0
	s_mul_hi_u32 s0, s8, s1
	s_mul_i32 s45, s0, s46
	s_sub_i32 s45, s8, s45
	s_add_i32 s1, s0, 1
	s_sub_i32 s48, s45, s46
	s_cmp_ge_u32 s45, s46
	s_cselect_b32 s0, s1, s0
	s_cselect_b32 s45, s48, s45
	s_add_i32 s1, s0, 1
	s_cmp_ge_u32 s45, s46
	s_cselect_b32 s0, s1, s0
	s_mov_b32 s1, s44
.LBB0_9:                                ;   in Loop: Header=BB0_6 Depth=1
	s_mul_i32 s37, s46, s37
	s_mul_hi_u32 s45, s46, s36
	s_add_i32 s37, s45, s37
	s_mul_i32 s45, s47, s36
	s_add_i32 s37, s37, s45
	s_mul_i32 s45, s0, s47
	s_mul_hi_u32 s47, s0, s46
	s_load_dwordx2 s[48:49], s[40:41], 0x0
	s_add_i32 s45, s47, s45
	s_mul_i32 s47, s1, s46
	s_mul_i32 s36, s46, s36
	s_add_i32 s45, s45, s47
	s_mul_i32 s46, s0, s46
	s_sub_u32 s46, s8, s46
	s_subb_u32 s45, s9, s45
	s_waitcnt lgkmcnt(0)
	s_mul_i32 s8, s48, s45
	s_mul_hi_u32 s9, s48, s46
	s_add_i32 s47, s9, s8
	s_load_dwordx2 s[8:9], s[38:39], 0x0
	s_mul_i32 s49, s49, s46
	s_add_i32 s47, s47, s49
	s_mul_i32 s48, s48, s46
	s_add_u32 s4, s48, s4
	s_addc_u32 s5, s47, s5
	s_waitcnt lgkmcnt(0)
	s_mul_i32 s45, s8, s45
	s_mul_hi_u32 s47, s8, s46
	s_add_i32 s45, s47, s45
	s_mul_i32 s9, s9, s46
	s_add_i32 s45, s45, s9
	s_mul_i32 s8, s8, s46
	s_add_u32 s2, s8, s2
	s_addc_u32 s3, s45, s3
	s_add_u32 s42, s42, 1
	s_addc_u32 s43, s43, 0
	;; [unrolled: 2-line block ×4, first 2 shown]
	v_cmp_ge_u64_e32 vcc, s[42:43], v[1:2]
	s_add_u32 s12, s12, 8
	s_addc_u32 s13, s13, 0
	s_cbranch_vccnz .LBB0_12
; %bb.10:                               ;   in Loop: Header=BB0_6 Depth=1
	s_mov_b64 s[8:9], s[0:1]
	s_branch .LBB0_6
.LBB0_11:                               ;   in Loop: Header=BB0_6 Depth=1
                                        ; implicit-def: $sgpr0_sgpr1
	s_branch .LBB0_8
.LBB0_12:
	v_mov_b32_e32 v1, s36
	v_mov_b32_e32 v2, s37
	v_cmp_lt_u64_e32 vcc, s[6:7], v[1:2]
	s_mov_b64 s[8:9], 0
	s_cbranch_vccnz .LBB0_14
; %bb.13:
	v_cvt_f32_u32_e32 v1, s36
	s_sub_i32 s0, 0, s36
	v_rcp_iflag_f32_e32 v1, v1
	v_mul_f32_e32 v1, 0x4f7ffffe, v1
	v_cvt_u32_f32_e32 v1, v1
	v_readfirstlane_b32 s1, v1
	s_mul_i32 s0, s0, s1
	s_mul_hi_u32 s0, s1, s0
	s_add_i32 s1, s1, s0
	s_mul_hi_u32 s0, s6, s1
	s_mul_i32 s7, s0, s36
	s_sub_i32 s6, s6, s7
	s_add_i32 s1, s0, 1
	s_sub_i32 s7, s6, s36
	s_cmp_ge_u32 s6, s36
	s_cselect_b32 s0, s1, s0
	s_cselect_b32 s6, s7, s6
	s_add_i32 s1, s0, 1
	s_cmp_ge_u32 s6, s36
	s_cselect_b32 s8, s1, s0
.LBB0_14:
	s_lshl_b64 s[12:13], s[10:11], 3
	s_mov_b32 s1, 0x1999999a
	s_add_u32 s6, s34, s12
	v_mul_hi_u32 v7, v0, s1
	s_addc_u32 s7, s35, s13
	s_add_u32 s0, s50, 10
	v_mov_b32_e32 v1, s30
	s_addc_u32 s1, s33, 0
	v_mov_b32_e32 v2, s31
	v_cmp_le_u64_e32 vcc, s[0:1], v[1:2]
	v_mul_u32_u24_e32 v1, 10, v7
	v_sub_u32_e32 v9, v0, v1
	v_mov_b32_e32 v2, s33
	v_add_co_u32_e64 v1, s[0:1], s50, v9
	v_addc_co_u32_e64 v2, s[0:1], 0, v2, s[0:1]
	v_cmp_gt_u64_e64 s[0:1], s[30:31], v[1:2]
	v_lshlrev_b32_e32 v10, 2, v7
	s_or_b64 s[0:1], vcc, s[0:1]
	v_add_u32_e32 v8, 40, v7
	s_and_saveexec_b64 s[10:11], s[0:1]
	s_cbranch_execz .LBB0_16
; %bb.15:
	s_add_u32 s12, s14, s12
	s_addc_u32 s13, s15, s13
	s_load_dwordx2 s[12:13], s[12:13], 0x0
	v_mad_u64_u32 v[1:2], s[14:15], s26, v9, 0
	v_mad_u64_u32 v[3:4], s[14:15], s24, v7, 0
	s_waitcnt lgkmcnt(0)
	s_mul_i32 s9, s13, s8
	s_mul_hi_u32 s13, s12, s8
	s_add_i32 s13, s13, s9
	s_mul_i32 s12, s12, s8
	v_mad_u64_u32 v[5:6], s[14:15], s27, v9, v[2:3]
	v_mov_b32_e32 v2, v4
	s_lshl_b64 s[12:13], s[12:13], 2
	v_mad_u64_u32 v[11:12], s[14:15], s25, v7, v[2:3]
	s_add_u32 s9, s20, s12
	s_addc_u32 s12, s21, s13
	s_lshl_b64 s[4:5], s[4:5], 2
	s_add_u32 s9, s9, s4
	s_addc_u32 s4, s12, s5
	v_mov_b32_e32 v2, v5
	v_mov_b32_e32 v4, v11
	;; [unrolled: 1-line block ×3, first 2 shown]
	v_mad_u64_u32 v[5:6], s[4:5], s24, v8, 0
	v_lshlrev_b64 v[1:2], 2, v[1:2]
	v_add_u32_e32 v13, 0x50, v7
	v_add_co_u32_e32 v17, vcc, s9, v1
	v_addc_co_u32_e32 v18, vcc, v11, v2, vcc
	v_lshlrev_b64 v[1:2], 2, v[3:4]
	v_mov_b32_e32 v3, v6
	v_mad_u64_u32 v[3:4], s[4:5], s25, v8, v[3:4]
	v_mad_u64_u32 v[11:12], s[4:5], s24, v13, 0
	v_mov_b32_e32 v6, v3
	v_lshlrev_b64 v[3:4], 2, v[5:6]
	v_mov_b32_e32 v5, v12
	v_mad_u64_u32 v[5:6], s[4:5], s25, v13, v[5:6]
	v_add_u32_e32 v15, 0x78, v7
	v_mad_u64_u32 v[13:14], s[4:5], s24, v15, 0
	v_mov_b32_e32 v12, v5
	v_lshlrev_b64 v[5:6], 2, v[11:12]
	v_mov_b32_e32 v11, v14
	v_mad_u64_u32 v[11:12], s[4:5], s25, v15, v[11:12]
	v_add_u32_e32 v19, 0xa0, v7
	v_mad_u64_u32 v[15:16], s[4:5], s24, v19, 0
	v_mov_b32_e32 v14, v11
	v_add_co_u32_e32 v1, vcc, v17, v1
	v_lshlrev_b64 v[11:12], 2, v[13:14]
	v_mov_b32_e32 v13, v16
	v_addc_co_u32_e32 v2, vcc, v18, v2, vcc
	v_mad_u64_u32 v[13:14], s[4:5], s25, v19, v[13:14]
	v_add_co_u32_e32 v3, vcc, v17, v3
	v_addc_co_u32_e32 v4, vcc, v18, v4, vcc
	v_add_co_u32_e32 v5, vcc, v17, v5
	v_addc_co_u32_e32 v6, vcc, v18, v6, vcc
	v_mov_b32_e32 v16, v13
	v_add_co_u32_e32 v11, vcc, v17, v11
	v_lshlrev_b64 v[13:14], 2, v[15:16]
	v_addc_co_u32_e32 v12, vcc, v18, v12, vcc
	v_add_co_u32_e32 v13, vcc, v17, v13
	v_addc_co_u32_e32 v14, vcc, v18, v14, vcc
	global_load_dword v15, v[1:2], off
	global_load_dword v16, v[3:4], off
	;; [unrolled: 1-line block ×5, first 2 shown]
	s_movk_i32 s4, 0x320
	v_mul_lo_u32 v1, v9, s4
	v_add3_u32 v1, 0, v1, v10
	s_waitcnt vmcnt(3)
	ds_write2_b32 v1, v15, v16 offset1:40
	s_waitcnt vmcnt(1)
	ds_write2_b32 v1, v17, v18 offset0:80 offset1:120
	s_waitcnt vmcnt(0)
	ds_write_b32 v1, v19 offset:640
.LBB0_16:
	s_or_b64 exec, exec, s[10:11]
	s_mov_b32 s4, 0x6666667
	v_mul_hi_u32 v5, v0, s4
	s_add_u32 s4, 0, 0x99986000
	s_addc_u32 s5, 0, 0x59
	s_add_i32 s5, s5, 0x19999940
	s_mul_hi_u32 s12, s4, -10
	s_sub_i32 s12, s12, s4
	s_mul_i32 s13, s5, -10
	s_mul_i32 s9, s4, -10
	s_add_i32 s12, s12, s13
	s_mul_hi_u32 s10, s5, s9
	s_mul_i32 s11, s5, s9
	s_mul_i32 s14, s4, s12
	s_mul_hi_u32 s9, s4, s9
	s_mul_hi_u32 s13, s4, s12
	s_add_u32 s9, s9, s14
	s_addc_u32 s13, 0, s13
	s_add_u32 s9, s9, s11
	s_mul_hi_u32 s14, s5, s12
	s_addc_u32 s9, s13, s10
	s_addc_u32 s10, s14, 0
	s_mul_i32 s11, s5, s12
	v_mov_b32_e32 v1, s33
	v_add_co_u32_e32 v12, vcc, s50, v5
	s_add_u32 s9, s9, s11
	v_addc_co_u32_e32 v6, vcc, 0, v1, vcc
	v_mov_b32_e32 v1, s9
	s_addc_u32 s10, 0, s10
	v_add_co_u32_e32 v3, vcc, s4, v1
	s_cmp_lg_u64 vcc, 0
	s_addc_u32 s9, s5, s10
	v_mad_u64_u32 v[1:2], s[4:5], v12, s9, 0
	v_mul_hi_u32 v4, v12, v3
	v_add_co_u32_e32 v11, vcc, v4, v1
	v_addc_co_u32_e32 v13, vcc, 0, v2, vcc
	v_mad_u64_u32 v[1:2], s[4:5], v6, v3, 0
	v_mad_u64_u32 v[3:4], s[4:5], v6, s9, 0
	v_add_co_u32_e32 v1, vcc, v11, v1
	v_addc_co_u32_e32 v1, vcc, v13, v2, vcc
	v_addc_co_u32_e32 v2, vcc, 0, v4, vcc
	v_add_co_u32_e32 v1, vcc, v1, v3
	v_addc_co_u32_e32 v3, vcc, 0, v2, vcc
	v_mad_u64_u32 v[1:2], s[4:5], v1, 10, 0
	s_load_dwordx2 s[4:5], s[6:7], 0x0
	s_waitcnt lgkmcnt(0)
	v_mad_u64_u32 v[2:3], s[6:7], v3, 10, v[2:3]
	v_sub_co_u32_e32 v1, vcc, v12, v1
	v_subb_co_u32_e32 v2, vcc, v6, v2, vcc
	v_subrev_co_u32_e32 v3, vcc, 10, v1
	v_subbrev_co_u32_e32 v4, vcc, 0, v2, vcc
	v_cmp_lt_u32_e32 vcc, 9, v3
	v_cndmask_b32_e64 v6, 0, -1, vcc
	v_cmp_eq_u32_e32 vcc, 0, v4
	v_cndmask_b32_e32 v4, -1, v6, vcc
	v_add_u32_e32 v6, -10, v3
	v_cmp_ne_u32_e32 vcc, 0, v4
	v_cndmask_b32_e32 v3, v3, v6, vcc
	v_cmp_lt_u32_e32 vcc, 9, v1
	v_cndmask_b32_e64 v4, 0, -1, vcc
	v_cmp_eq_u32_e32 vcc, 0, v2
	v_cndmask_b32_e32 v2, -1, v4, vcc
	v_cmp_ne_u32_e32 vcc, 0, v2
	v_cndmask_b32_e32 v1, v1, v3, vcc
	v_mul_u32_u24_e32 v2, 40, v5
	v_mul_u32_u24_e32 v1, 0xc8, v1
	v_sub_u32_e32 v13, v0, v2
	v_lshlrev_b32_e32 v15, 2, v1
	v_lshlrev_b32_e32 v0, 2, v13
	v_add3_u32 v14, 0, v15, v0
	s_barrier
	v_add3_u32 v11, 0, v0, v15
	ds_read_b32 v19, v14
	ds_read2_b32 v[2:3], v11 offset0:40 offset1:80
	ds_read2_b32 v[5:6], v11 offset0:120 offset1:160
	s_movk_i32 s6, 0x3b9c
	s_movk_i32 s7, 0x38b4
	;; [unrolled: 1-line block ×3, first 2 shown]
	s_waitcnt lgkmcnt(1)
	v_pk_add_f16 v1, v19, v2
	v_pk_add_f16 v1, v1, v3
	s_waitcnt lgkmcnt(0)
	v_pk_add_f16 v1, v1, v5
	v_pk_add_f16 v16, v1, v6
	;; [unrolled: 1-line block ×3, first 2 shown]
	v_pk_add_f16 v22, v3, v5 neg_lo:[0,1] neg_hi:[0,1]
	v_pk_fma_f16 v1, v1, 0.5, v19 op_sel_hi:[1,0,1] neg_lo:[1,0,0] neg_hi:[1,0,0]
	v_pk_add_f16 v17, v3, v2 neg_lo:[0,1] neg_hi:[0,1]
	v_pk_add_f16 v18, v5, v6 neg_lo:[0,1] neg_hi:[0,1]
	;; [unrolled: 1-line block ×3, first 2 shown]
	v_pk_fma_f16 v4, v22, s6, v1 op_sel:[0,0,1] op_sel_hi:[1,0,0]
	v_pk_add_f16 v17, v17, v18
	v_pk_fma_f16 v1, v22, s6, v1 op_sel:[0,0,1] op_sel_hi:[1,0,0] neg_lo:[1,0,0] neg_hi:[1,0,0]
	v_pk_fma_f16 v4, v21, s7, v4 op_sel_hi:[1,0,1] neg_lo:[1,0,0] neg_hi:[1,0,0]
	v_pk_mul_f16 v18, v17, s9 op_sel_hi:[1,0]
	v_pk_fma_f16 v1, v21, s7, v1 op_sel_hi:[1,0,1]
	v_pk_add_f16 v17, v18, v4 op_sel:[1,0] op_sel_hi:[0,1]
	v_pk_add_f16 v18, v18, v1 op_sel:[1,0] op_sel_hi:[0,1]
	v_lshl_add_u32 v20, v13, 4, v11
	v_alignbit_b32 v23, v17, v18, 16
	v_alignbit_b32 v24, v18, v17, 16
	s_barrier
	ds_write2_b32 v20, v24, v23 offset0:2 offset1:3
	v_pk_add_f16 v23, v3, v5
	v_pk_fma_f16 v19, v23, 0.5, v19 op_sel_hi:[1,0,1] neg_lo:[1,0,0] neg_hi:[1,0,0]
	v_pk_add_f16 v2, v2, v3 neg_lo:[0,1] neg_hi:[0,1]
	v_pk_add_f16 v3, v6, v5 neg_lo:[0,1] neg_hi:[0,1]
	v_pk_mul_f16 v5, v21, s6 op_sel_hi:[1,0]
	v_pk_add_f16 v2, v2, v3
	v_pk_add_f16 v3, v19, v5 op_sel:[0,1] op_sel_hi:[1,0] neg_lo:[0,1] neg_hi:[0,1]
	v_pk_mul_f16 v6, v22, s7 op_sel_hi:[1,0]
	v_pk_add_f16 v5, v5, v19 op_sel:[1,0] op_sel_hi:[0,1]
	v_pk_add_f16 v21, v3, v6 op_sel:[0,1] op_sel_hi:[1,0] neg_lo:[0,1] neg_hi:[0,1]
	v_pk_add_f16 v5, v6, v5 op_sel:[1,0] op_sel_hi:[0,1]
	s_mov_b32 s6, 0xffff
	v_pk_fma_f16 v6, v2, s9, v5 op_sel_hi:[1,0,1]
	v_bfi_b32 v5, s6, v5, v21
	v_pk_fma_f16 v3, v2, s9, v21 op_sel_hi:[1,0,1]
	v_pk_fma_f16 v2, v2, s9, v5 op_sel_hi:[1,0,1]
	v_lshrrev_b32_e32 v4, 16, v17
	v_lshrrev_b32_e32 v1, 16, v18
	;; [unrolled: 1-line block ×3, first 2 shown]
	v_bfi_b32 v5, s6, v3, v6
	v_cmp_gt_u32_e32 vcc, 25, v13
	v_lshrrev_b32_e32 v21, 16, v2
	ds_write2_b32 v20, v16, v5 offset1:1
	ds_write_b32 v20, v2 offset:16
	s_waitcnt lgkmcnt(0)
	s_barrier
	s_waitcnt lgkmcnt(0)
                                        ; implicit-def: $vgpr24
                                        ; implicit-def: $vgpr20
                                        ; implicit-def: $vgpr22
                                        ; implicit-def: $vgpr6
                                        ; implicit-def: $vgpr23
	s_and_saveexec_b64 s[6:7], vcc
	s_cbranch_execz .LBB0_18
; %bb.17:
	ds_read2_b32 v[3:4], v11 offset0:25 offset1:50
	ds_read2_b32 v[1:2], v11 offset0:75 offset1:100
	;; [unrolled: 1-line block ×3, first 2 shown]
	ds_read_b32 v16, v14
	ds_read_b32 v20, v11 offset:700
	s_waitcnt lgkmcnt(4)
	v_lshrrev_b32_e32 v19, 16, v3
	v_lshrrev_b32_e32 v18, 16, v4
	s_waitcnt lgkmcnt(3)
	v_lshrrev_b32_e32 v17, 16, v1
	v_lshrrev_b32_e32 v21, 16, v2
	;; [unrolled: 3-line block ×3, first 2 shown]
	s_waitcnt lgkmcnt(0)
	v_lshrrev_b32_e32 v24, 16, v20
.LBB0_18:
	s_or_b64 exec, exec, s[6:7]
	s_barrier
	s_and_saveexec_b64 s[6:7], vcc
	s_cbranch_execz .LBB0_20
; %bb.19:
	s_movk_i32 s9, 0xcd
	v_mul_lo_u16_sdwa v25, v13, s9 dst_sel:DWORD dst_unused:UNUSED_PAD src0_sel:BYTE_0 src1_sel:DWORD
	v_lshrrev_b16_e32 v32, 10, v25
	v_mul_lo_u16_e32 v25, 5, v32
	v_sub_u16_e32 v33, v13, v25
	v_mov_b32_e32 v25, 7
	v_mul_u32_u24_sdwa v25, v33, v25 dst_sel:DWORD dst_unused:UNUSED_PAD src0_sel:BYTE_0 src1_sel:DWORD
	v_lshlrev_b32_e32 v34, 2, v25
	global_load_dwordx4 v[25:28], v34, s[28:29]
	global_load_dwordx3 v[29:31], v34, s[28:29] offset:16
	v_mul_u32_u24_e32 v32, 40, v32
	v_or_b32_sdwa v32, v32, v33 dst_sel:DWORD dst_unused:UNUSED_PAD src0_sel:DWORD src1_sel:BYTE_0
	v_lshrrev_b32_e32 v34, 16, v16
	s_movk_i32 s9, 0x39a8
	s_mov_b32 s10, 0xb9a8
	s_waitcnt vmcnt(1)
	v_mul_f16_sdwa v33, v19, v25 dst_sel:DWORD dst_unused:UNUSED_PAD src0_sel:DWORD src1_sel:WORD_1
	v_mul_f16_sdwa v35, v18, v26 dst_sel:DWORD dst_unused:UNUSED_PAD src0_sel:DWORD src1_sel:WORD_1
	;; [unrolled: 1-line block ×8, first 2 shown]
	s_waitcnt vmcnt(0)
	v_mul_f16_sdwa v42, v6, v30 dst_sel:DWORD dst_unused:UNUSED_PAD src0_sel:DWORD src1_sel:WORD_1
	v_mul_f16_sdwa v43, v24, v31 dst_sel:DWORD dst_unused:UNUSED_PAD src0_sel:DWORD src1_sel:WORD_1
	v_fma_f16 v3, v3, v25, v33
	v_fma_f16 v4, v4, v26, v35
	v_mul_f16_sdwa v33, v20, v31 dst_sel:DWORD dst_unused:UNUSED_PAD src0_sel:DWORD src1_sel:WORD_1
	v_mul_f16_sdwa v35, v5, v29 dst_sel:DWORD dst_unused:UNUSED_PAD src0_sel:DWORD src1_sel:WORD_1
	v_fma_f16 v2, v2, v28, v38
	v_fma_f16 v1, v1, v27, v39
	v_mul_f16_sdwa v38, v23, v29 dst_sel:DWORD dst_unused:UNUSED_PAD src0_sel:DWORD src1_sel:WORD_1
	v_mul_f16_sdwa v39, v22, v30 dst_sel:DWORD dst_unused:UNUSED_PAD src0_sel:DWORD src1_sel:WORD_1
	v_fma_f16 v18, v18, v26, -v36
	v_fma_f16 v19, v19, v25, -v37
	;; [unrolled: 1-line block ×4, first 2 shown]
	v_fma_f16 v20, v20, v31, v43
	v_fma_f16 v24, v24, v31, -v33
	v_fma_f16 v23, v23, v29, -v35
	;; [unrolled: 1-line block ×3, first 2 shown]
	v_fma_f16 v5, v5, v29, v38
	v_fma_f16 v6, v6, v30, v39
	v_sub_f16_e32 v2, v16, v2
	v_sub_f16_e32 v22, v18, v22
	;; [unrolled: 1-line block ×8, first 2 shown]
	v_add_f16_e32 v25, v2, v22
	v_sub_f16_e32 v26, v23, v20
	v_add_f16_e32 v27, v5, v24
	v_sub_f16_e32 v28, v21, v6
	v_fma_f16 v16, v16, 2.0, -v2
	v_fma_f16 v4, v4, 2.0, -v6
	;; [unrolled: 1-line block ×8, first 2 shown]
	v_fma_f16 v20, v27, s9, v25
	v_fma_f16 v22, v26, s9, v28
	v_sub_f16_e32 v4, v16, v4
	v_sub_f16_e32 v17, v6, v17
	;; [unrolled: 1-line block ×4, first 2 shown]
	v_fma_f16 v2, v2, 2.0, -v25
	v_fma_f16 v23, v23, 2.0, -v26
	;; [unrolled: 1-line block ×4, first 2 shown]
	v_fma_f16 v20, v26, s9, v20
	v_fma_f16 v22, v27, s10, v22
	v_sub_f16_e32 v26, v18, v1
	v_fma_f16 v27, v5, s10, v2
	v_fma_f16 v29, v23, s10, v21
	v_fma_f16 v16, v16, 2.0, -v4
	v_fma_f16 v1, v3, 2.0, -v1
	v_fma_f16 v3, v19, 2.0, -v18
	v_fma_f16 v6, v6, 2.0, -v17
	v_fma_f16 v23, v23, s9, v27
	v_fma_f16 v5, v5, s10, v29
	v_sub_f16_e32 v1, v16, v1
	v_sub_f16_e32 v6, v3, v6
	v_add_f16_e32 v24, v4, v17
	v_fma_f16 v17, v25, 2.0, -v20
	v_fma_f16 v2, v2, 2.0, -v23
	;; [unrolled: 1-line block ×5, first 2 shown]
	v_lshlrev_b32_e32 v25, 2, v32
	v_fma_f16 v19, v28, 2.0, -v22
	v_fma_f16 v4, v4, 2.0, -v24
	v_fma_f16 v18, v18, 2.0, -v26
	v_add3_u32 v15, 0, v25, v15
	v_pack_b32_f16 v3, v16, v3
	v_pack_b32_f16 v2, v2, v21
	ds_write2_b32 v15, v3, v2 offset1:5
	v_pack_b32_f16 v2, v4, v18
	v_pack_b32_f16 v3, v17, v19
	ds_write2_b32 v15, v2, v3 offset0:10 offset1:15
	v_pack_b32_f16 v1, v1, v6
	v_pack_b32_f16 v2, v23, v5
	ds_write2_b32 v15, v1, v2 offset0:20 offset1:25
	;; [unrolled: 3-line block ×3, first 2 shown]
.LBB0_20:
	s_or_b64 exec, exec, s[6:7]
	v_mov_b32_e32 v1, 0
	v_lshlrev_b64 v[0:1], 2, v[0:1]
	v_mov_b32_e32 v2, s29
	v_add_co_u32_e32 v0, vcc, s28, v0
	v_addc_co_u32_e32 v1, vcc, v2, v1, vcc
	s_waitcnt lgkmcnt(0)
	s_barrier
	global_load_dwordx4 v[0:3], v[0:1], off offset:140
	ds_read_b32 v6, v14
	ds_read_u16 v16, v14 offset:2
	ds_read2_b32 v[4:5], v11 offset0:40 offset1:80
	ds_read2_b32 v[14:15], v11 offset0:120 offset1:160
	v_mul_lo_u32 v13, v13, v12
	v_mul_lo_u32 v12, v12, 40
	s_mov_b32 s6, 0xbb9c
	s_waitcnt lgkmcnt(1)
	v_lshrrev_b32_e32 v17, 16, v4
	v_lshrrev_b32_e32 v18, 16, v5
	s_waitcnt lgkmcnt(0)
	v_lshrrev_b32_e32 v19, 16, v14
	v_lshrrev_b32_e32 v20, 16, v15
	s_movk_i32 s10, 0x3b9c
	s_mov_b32 s7, 0xb8b4
	s_movk_i32 s11, 0x38b4
	s_movk_i32 s9, 0x34f2
	s_waitcnt vmcnt(0)
	v_mul_f16_sdwa v21, v0, v17 dst_sel:DWORD dst_unused:UNUSED_PAD src0_sel:WORD_1 src1_sel:DWORD
	v_mul_f16_sdwa v22, v0, v4 dst_sel:DWORD dst_unused:UNUSED_PAD src0_sel:WORD_1 src1_sel:DWORD
	;; [unrolled: 1-line block ×8, first 2 shown]
	v_fma_f16 v4, v0, v4, v21
	v_fma_f16 v0, v0, v17, -v22
	v_fma_f16 v5, v1, v5, v23
	v_fma_f16 v1, v1, v18, -v24
	;; [unrolled: 2-line block ×4, first 2 shown]
	v_add_f16_e32 v17, v4, v6
	v_add_f16_e32 v18, v5, v14
	v_sub_f16_e32 v21, v4, v5
	v_sub_f16_e32 v22, v15, v14
	v_add_f16_e32 v23, v4, v15
	v_add_f16_e32 v27, v1, v2
	;; [unrolled: 1-line block ×3, first 2 shown]
	v_sub_f16_e32 v19, v0, v3
	v_sub_f16_e32 v20, v1, v2
	;; [unrolled: 1-line block ×4, first 2 shown]
	v_add_f16_e32 v26, v16, v0
	v_sub_f16_e32 v28, v5, v14
	v_add_f16_e32 v5, v17, v5
	v_fma_f16 v17, v18, -0.5, v6
	v_add_f16_e32 v18, v21, v22
	v_fma_f16 v6, v23, -0.5, v6
	v_fma_f16 v22, v27, -0.5, v16
	;; [unrolled: 1-line block ×3, first 2 shown]
	v_sub_f16_e32 v4, v4, v15
	v_sub_f16_e32 v29, v0, v1
	;; [unrolled: 1-line block ×4, first 2 shown]
	v_add_f16_e32 v21, v24, v25
	v_add_f16_e32 v1, v26, v1
	;; [unrolled: 1-line block ×3, first 2 shown]
	v_fma_f16 v14, v19, s6, v17
	v_fma_f16 v17, v19, s10, v17
	;; [unrolled: 1-line block ×6, first 2 shown]
	v_sub_f16_e32 v30, v3, v2
	v_add_f16_e32 v1, v1, v2
	v_fma_f16 v2, v4, s10, v22
	v_fma_f16 v22, v4, s6, v22
	v_add_f16_e32 v5, v5, v15
	v_fma_f16 v14, v20, s7, v14
	v_fma_f16 v15, v20, s11, v17
	;; [unrolled: 1-line block ×5, first 2 shown]
	v_add_f16_e32 v0, v0, v32
	v_fma_f16 v4, v4, s7, v16
	v_fma_f16 v14, v18, s9, v14
	;; [unrolled: 1-line block ×5, first 2 shown]
	v_and_b32_e32 v4, 63, v13
	v_lshrrev_b32_e32 v16, 4, v13
	v_lshrrev_b32_e32 v19, 10, v13
	v_add_u32_e32 v13, v13, v12
	v_add_f16_e32 v1, v1, v3
	v_fma_f16 v3, v28, s7, v22
	v_fma_f16 v17, v21, s9, v17
	v_fma_f16 v6, v21, s9, v6
	v_and_b32_e32 v20, 63, v13
	v_lshrrev_b32_e32 v21, 4, v13
	v_lshrrev_b32_e32 v22, 10, v13
	v_add_u32_e32 v13, v13, v12
	v_add_f16_e32 v23, v29, v30
	v_fma_f16 v2, v28, s11, v2
	v_lshrrev_b32_e32 v24, 4, v13
	v_fma_f16 v2, v23, s9, v2
	v_fma_f16 v3, v23, s9, v3
	s_add_i32 s6, 0, 0x1f40
	v_and_b32_e32 v16, 0xfc, v16
	v_and_b32_e32 v19, 0xfc, v19
	;; [unrolled: 1-line block ×6, first 2 shown]
	v_lshl_add_u32 v4, v4, 2, 0
	v_add_u32_e32 v16, s6, v16
	v_add_u32_e32 v19, s6, v19
	v_lshl_add_u32 v20, v20, 2, 0
	v_add_u32_e32 v21, s6, v21
	v_add_u32_e32 v22, s6, v22
	v_lshl_add_u32 v23, v23, 2, 0
	v_add_u32_e32 v24, s6, v24
	ds_read_b32 v4, v4 offset:8000
	ds_read_b32 v16, v16 offset:256
	;; [unrolled: 1-line block ×8, first 2 shown]
	s_waitcnt lgkmcnt(7)
	v_lshrrev_b32_e32 v25, 16, v4
	s_waitcnt lgkmcnt(6)
	v_mul_f16_sdwa v26, v25, v16 dst_sel:DWORD dst_unused:UNUSED_PAD src0_sel:DWORD src1_sel:WORD_1
	v_fma_f16 v26, v4, v16, -v26
	v_mul_f16_sdwa v4, v4, v16 dst_sel:DWORD dst_unused:UNUSED_PAD src0_sel:DWORD src1_sel:WORD_1
	v_fma_f16 v4, v25, v16, v4
	s_waitcnt lgkmcnt(5)
	v_mul_f16_sdwa v25, v26, v19 dst_sel:DWORD dst_unused:UNUSED_PAD src0_sel:DWORD src1_sel:WORD_1
	v_mul_f16_sdwa v16, v4, v19 dst_sel:DWORD dst_unused:UNUSED_PAD src0_sel:DWORD src1_sel:WORD_1
	v_fma_f16 v4, v19, v4, v25
	v_fma_f16 v16, v19, v26, -v16
	v_mul_f16_e32 v19, v1, v4
	v_mul_f16_e32 v4, v5, v4
	v_fma_f16 v19, v5, v16, v19
	v_fma_f16 v1, v1, v16, -v4
	s_waitcnt lgkmcnt(4)
	v_lshrrev_b32_e32 v4, 16, v20
	s_waitcnt lgkmcnt(3)
	v_mul_f16_sdwa v16, v20, v21 dst_sel:DWORD dst_unused:UNUSED_PAD src0_sel:DWORD src1_sel:WORD_1
	v_mul_f16_sdwa v5, v4, v21 dst_sel:DWORD dst_unused:UNUSED_PAD src0_sel:DWORD src1_sel:WORD_1
	v_fma_f16 v4, v4, v21, v16
	v_fma_f16 v5, v20, v21, -v5
	s_waitcnt lgkmcnt(2)
	v_mul_f16_sdwa v16, v4, v22 dst_sel:DWORD dst_unused:UNUSED_PAD src0_sel:DWORD src1_sel:WORD_1
	v_fma_f16 v16, v22, v5, -v16
	v_mul_f16_sdwa v5, v5, v22 dst_sel:DWORD dst_unused:UNUSED_PAD src0_sel:DWORD src1_sel:WORD_1
	v_fma_f16 v4, v22, v4, v5
	v_mul_f16_e32 v5, v2, v4
	v_mul_f16_e32 v4, v14, v4
	v_fma_f16 v5, v14, v16, v5
	v_fma_f16 v2, v2, v16, -v4
	s_waitcnt lgkmcnt(1)
	v_lshrrev_b32_e32 v4, 16, v23
	s_waitcnt lgkmcnt(0)
	v_mul_f16_sdwa v16, v23, v24 dst_sel:DWORD dst_unused:UNUSED_PAD src0_sel:DWORD src1_sel:WORD_1
	v_mul_f16_sdwa v14, v4, v24 dst_sel:DWORD dst_unused:UNUSED_PAD src0_sel:DWORD src1_sel:WORD_1
	v_fma_f16 v4, v4, v24, v16
	v_lshrrev_b32_e32 v16, 10, v13
	v_add_u32_e32 v13, v13, v12
	v_add_u32_e32 v12, v13, v12
	v_fma_f16 v14, v23, v24, -v14
	v_and_b32_e32 v20, 63, v13
	v_lshrrev_b32_e32 v21, 4, v13
	v_lshrrev_b32_e32 v22, 10, v13
	v_and_b32_e32 v13, 63, v12
	v_lshrrev_b32_e32 v23, 4, v12
	v_lshrrev_b32_e32 v12, 10, v12
	v_and_b32_e32 v16, 0xfc, v16
	v_and_b32_e32 v21, 0xfc, v21
	;; [unrolled: 1-line block ×5, first 2 shown]
	v_add_u32_e32 v16, s6, v16
	v_lshl_add_u32 v20, v20, 2, 0
	v_add_u32_e32 v21, s6, v21
	v_add_u32_e32 v22, s6, v22
	v_lshl_add_u32 v13, v13, 2, 0
	v_add_u32_e32 v23, s6, v23
	v_add_u32_e32 v12, s6, v12
	ds_read_b32 v16, v16 offset:512
	ds_read_b32 v20, v20 offset:8000
	;; [unrolled: 1-line block ×7, first 2 shown]
	s_waitcnt lgkmcnt(6)
	v_mul_f16_sdwa v24, v4, v16 dst_sel:DWORD dst_unused:UNUSED_PAD src0_sel:DWORD src1_sel:WORD_1
	v_fma_f16 v24, v16, v14, -v24
	v_mul_f16_sdwa v14, v14, v16 dst_sel:DWORD dst_unused:UNUSED_PAD src0_sel:DWORD src1_sel:WORD_1
	v_fma_f16 v4, v16, v4, v14
	v_mul_f16_e32 v14, v18, v4
	v_mul_f16_e32 v4, v17, v4
	v_fma_f16 v4, v18, v24, -v4
	s_waitcnt lgkmcnt(5)
	v_lshrrev_b32_e32 v16, 16, v20
	s_waitcnt lgkmcnt(4)
	v_mul_f16_sdwa v18, v20, v21 dst_sel:DWORD dst_unused:UNUSED_PAD src0_sel:DWORD src1_sel:WORD_1
	v_fma_f16 v14, v17, v24, v14
	v_mul_f16_sdwa v17, v16, v21 dst_sel:DWORD dst_unused:UNUSED_PAD src0_sel:DWORD src1_sel:WORD_1
	v_fma_f16 v16, v16, v21, v18
	v_fma_f16 v17, v20, v21, -v17
	s_waitcnt lgkmcnt(3)
	v_mul_f16_sdwa v18, v16, v22 dst_sel:DWORD dst_unused:UNUSED_PAD src0_sel:DWORD src1_sel:WORD_1
	v_fma_f16 v18, v22, v17, -v18
	v_mul_f16_sdwa v17, v17, v22 dst_sel:DWORD dst_unused:UNUSED_PAD src0_sel:DWORD src1_sel:WORD_1
	v_fma_f16 v16, v22, v16, v17
	v_mul_f16_e32 v17, v0, v16
	v_fma_f16 v17, v6, v18, v17
	v_mul_f16_e32 v6, v6, v16
	v_fma_f16 v0, v0, v18, -v6
	s_waitcnt lgkmcnt(2)
	v_lshrrev_b32_e32 v6, 16, v13
	s_waitcnt lgkmcnt(1)
	v_mul_f16_sdwa v16, v6, v23 dst_sel:DWORD dst_unused:UNUSED_PAD src0_sel:DWORD src1_sel:WORD_1
	v_fma_f16 v16, v13, v23, -v16
	v_mul_f16_sdwa v13, v13, v23 dst_sel:DWORD dst_unused:UNUSED_PAD src0_sel:DWORD src1_sel:WORD_1
	v_fma_f16 v6, v6, v23, v13
	s_waitcnt lgkmcnt(0)
	v_mul_f16_sdwa v13, v6, v12 dst_sel:DWORD dst_unused:UNUSED_PAD src0_sel:DWORD src1_sel:WORD_1
	v_fma_f16 v13, v12, v16, -v13
	v_mul_f16_sdwa v16, v16, v12 dst_sel:DWORD dst_unused:UNUSED_PAD src0_sel:DWORD src1_sel:WORD_1
	v_fma_f16 v6, v12, v6, v16
	v_mul_f16_e32 v12, v3, v6
	v_mul_f16_e32 v6, v15, v6
	v_pack_b32_f16 v1, v19, v1
	v_pack_b32_f16 v2, v5, v2
	v_fma_f16 v12, v15, v13, v12
	v_fma_f16 v3, v3, v13, -v6
	s_barrier
	ds_write2_b32 v11, v1, v2 offset1:40
	v_pack_b32_f16 v1, v14, v4
	v_pack_b32_f16 v0, v17, v0
	ds_write2_b32 v11, v1, v0 offset0:80 offset1:120
	v_pack_b32_f16 v0, v12, v3
	ds_write_b32 v11, v0 offset:640
	s_waitcnt lgkmcnt(0)
	s_barrier
	s_and_saveexec_b64 s[6:7], s[0:1]
	s_cbranch_execz .LBB0_22
; %bb.21:
	s_mul_i32 s5, s5, s8
	s_mul_hi_u32 s6, s4, s8
	v_mad_u64_u32 v[0:1], s[0:1], s18, v9, 0
	s_add_i32 s1, s6, s5
	v_mad_u64_u32 v[2:3], s[6:7], s16, v7, 0
	s_movk_i32 s0, 0x320
	v_mad_u64_u32 v[4:5], s[6:7], s19, v9, v[1:2]
	v_mov_b32_e32 v1, v3
	v_mad_u64_u32 v[5:6], s[6:7], s17, v7, v[1:2]
	v_mul_lo_u32 v6, v9, s0
	s_mul_i32 s0, s4, s8
	s_lshl_b64 s[0:1], s[0:1], 2
	s_add_u32 s4, s22, s0
	v_mov_b32_e32 v1, v4
	s_addc_u32 s5, s23, s1
	s_lshl_b64 s[0:1], s[2:3], 2
	s_add_u32 s0, s4, s0
	v_lshlrev_b64 v[0:1], 2, v[0:1]
	v_add3_u32 v11, 0, v6, v10
	s_addc_u32 s1, s5, s1
	v_mov_b32_e32 v3, v5
	ds_read2_b32 v[4:5], v11 offset1:40
	v_mov_b32_e32 v6, s1
	v_add_co_u32_e32 v12, vcc, s0, v0
	v_addc_co_u32_e32 v13, vcc, v6, v1, vcc
	v_lshlrev_b64 v[0:1], 2, v[2:3]
	v_mad_u64_u32 v[2:3], s[0:1], s16, v8, 0
	v_add_u32_e32 v6, 0x50, v7
	v_add_co_u32_e32 v0, vcc, v12, v0
	s_waitcnt lgkmcnt(0)
	v_mad_u64_u32 v[8:9], s[0:1], s17, v8, v[3:4]
	v_mad_u64_u32 v[9:10], s[0:1], s16, v6, 0
	v_addc_co_u32_e32 v1, vcc, v13, v1, vcc
	v_mov_b32_e32 v3, v8
	global_store_dword v[0:1], v4, off
	v_lshlrev_b64 v[0:1], 2, v[2:3]
	v_mov_b32_e32 v2, v10
	v_add_co_u32_e32 v0, vcc, v12, v0
	v_mad_u64_u32 v[2:3], s[0:1], s17, v6, v[2:3]
	v_addc_co_u32_e32 v1, vcc, v13, v1, vcc
	v_add_u32_e32 v6, 0x78, v7
	global_store_dword v[0:1], v5, off
	v_mad_u64_u32 v[4:5], s[0:1], s16, v6, 0
	v_mov_b32_e32 v10, v2
	ds_read2_b32 v[0:1], v11 offset0:80 offset1:120
	v_mad_u64_u32 v[5:6], s[0:1], s17, v6, v[5:6]
	v_add_u32_e32 v8, 0xa0, v7
	v_lshlrev_b64 v[2:3], 2, v[9:10]
	v_mad_u64_u32 v[6:7], s[0:1], s16, v8, 0
	v_add_co_u32_e32 v2, vcc, v12, v2
	v_addc_co_u32_e32 v3, vcc, v13, v3, vcc
	s_waitcnt lgkmcnt(0)
	global_store_dword v[2:3], v0, off
	v_mov_b32_e32 v0, v7
	v_lshlrev_b64 v[2:3], 2, v[4:5]
	v_mad_u64_u32 v[4:5], s[0:1], s17, v8, v[0:1]
	v_add_co_u32_e32 v2, vcc, v12, v2
	v_addc_co_u32_e32 v3, vcc, v13, v3, vcc
	global_store_dword v[2:3], v1, off
	v_mov_b32_e32 v7, v4
	ds_read_b32 v2, v11 offset:640
	v_lshlrev_b64 v[0:1], 2, v[6:7]
	v_add_co_u32_e32 v0, vcc, v12, v0
	v_addc_co_u32_e32 v1, vcc, v13, v1, vcc
	s_waitcnt lgkmcnt(0)
	global_store_dword v[0:1], v2, off
.LBB0_22:
	s_endpgm
	.section	.rodata,"a",@progbits
	.p2align	6, 0x0
	.amdhsa_kernel fft_rtc_back_len200_factors_5_8_5_wgs_400_tpt_40_half_op_CI_CI_sbcc_twdbase6_3step
		.amdhsa_group_segment_fixed_size 0
		.amdhsa_private_segment_fixed_size 0
		.amdhsa_kernarg_size 112
		.amdhsa_user_sgpr_count 6
		.amdhsa_user_sgpr_private_segment_buffer 1
		.amdhsa_user_sgpr_dispatch_ptr 0
		.amdhsa_user_sgpr_queue_ptr 0
		.amdhsa_user_sgpr_kernarg_segment_ptr 1
		.amdhsa_user_sgpr_dispatch_id 0
		.amdhsa_user_sgpr_flat_scratch_init 0
		.amdhsa_user_sgpr_private_segment_size 0
		.amdhsa_uses_dynamic_stack 0
		.amdhsa_system_sgpr_private_segment_wavefront_offset 0
		.amdhsa_system_sgpr_workgroup_id_x 1
		.amdhsa_system_sgpr_workgroup_id_y 0
		.amdhsa_system_sgpr_workgroup_id_z 0
		.amdhsa_system_sgpr_workgroup_info 0
		.amdhsa_system_vgpr_workitem_id 0
		.amdhsa_next_free_vgpr 44
		.amdhsa_next_free_sgpr 55
		.amdhsa_reserve_vcc 1
		.amdhsa_reserve_flat_scratch 0
		.amdhsa_float_round_mode_32 0
		.amdhsa_float_round_mode_16_64 0
		.amdhsa_float_denorm_mode_32 3
		.amdhsa_float_denorm_mode_16_64 3
		.amdhsa_dx10_clamp 1
		.amdhsa_ieee_mode 1
		.amdhsa_fp16_overflow 0
		.amdhsa_exception_fp_ieee_invalid_op 0
		.amdhsa_exception_fp_denorm_src 0
		.amdhsa_exception_fp_ieee_div_zero 0
		.amdhsa_exception_fp_ieee_overflow 0
		.amdhsa_exception_fp_ieee_underflow 0
		.amdhsa_exception_fp_ieee_inexact 0
		.amdhsa_exception_int_div_zero 0
	.end_amdhsa_kernel
	.text
.Lfunc_end0:
	.size	fft_rtc_back_len200_factors_5_8_5_wgs_400_tpt_40_half_op_CI_CI_sbcc_twdbase6_3step, .Lfunc_end0-fft_rtc_back_len200_factors_5_8_5_wgs_400_tpt_40_half_op_CI_CI_sbcc_twdbase6_3step
                                        ; -- End function
	.section	.AMDGPU.csdata,"",@progbits
; Kernel info:
; codeLenInByte = 5724
; NumSgprs: 59
; NumVgprs: 44
; ScratchSize: 0
; MemoryBound: 0
; FloatMode: 240
; IeeeMode: 1
; LDSByteSize: 0 bytes/workgroup (compile time only)
; SGPRBlocks: 7
; VGPRBlocks: 10
; NumSGPRsForWavesPerEU: 59
; NumVGPRsForWavesPerEU: 44
; Occupancy: 5
; WaveLimiterHint : 1
; COMPUTE_PGM_RSRC2:SCRATCH_EN: 0
; COMPUTE_PGM_RSRC2:USER_SGPR: 6
; COMPUTE_PGM_RSRC2:TRAP_HANDLER: 0
; COMPUTE_PGM_RSRC2:TGID_X_EN: 1
; COMPUTE_PGM_RSRC2:TGID_Y_EN: 0
; COMPUTE_PGM_RSRC2:TGID_Z_EN: 0
; COMPUTE_PGM_RSRC2:TIDIG_COMP_CNT: 0
	.type	__hip_cuid_ce893385320e0cff,@object ; @__hip_cuid_ce893385320e0cff
	.section	.bss,"aw",@nobits
	.globl	__hip_cuid_ce893385320e0cff
__hip_cuid_ce893385320e0cff:
	.byte	0                               ; 0x0
	.size	__hip_cuid_ce893385320e0cff, 1

	.ident	"AMD clang version 19.0.0git (https://github.com/RadeonOpenCompute/llvm-project roc-6.4.0 25133 c7fe45cf4b819c5991fe208aaa96edf142730f1d)"
	.section	".note.GNU-stack","",@progbits
	.addrsig
	.addrsig_sym __hip_cuid_ce893385320e0cff
	.amdgpu_metadata
---
amdhsa.kernels:
  - .args:
      - .actual_access:  read_only
        .address_space:  global
        .offset:         0
        .size:           8
        .value_kind:     global_buffer
      - .address_space:  global
        .offset:         8
        .size:           8
        .value_kind:     global_buffer
      - .offset:         16
        .size:           8
        .value_kind:     by_value
      - .actual_access:  read_only
        .address_space:  global
        .offset:         24
        .size:           8
        .value_kind:     global_buffer
      - .actual_access:  read_only
        .address_space:  global
        .offset:         32
        .size:           8
        .value_kind:     global_buffer
      - .actual_access:  read_only
        .address_space:  global
        .offset:         40
        .size:           8
        .value_kind:     global_buffer
      - .offset:         48
        .size:           8
        .value_kind:     by_value
      - .actual_access:  read_only
        .address_space:  global
        .offset:         56
        .size:           8
        .value_kind:     global_buffer
      - .actual_access:  read_only
        .address_space:  global
        .offset:         64
        .size:           8
        .value_kind:     global_buffer
      - .offset:         72
        .size:           4
        .value_kind:     by_value
      - .actual_access:  read_only
        .address_space:  global
        .offset:         80
        .size:           8
        .value_kind:     global_buffer
      - .actual_access:  read_only
        .address_space:  global
        .offset:         88
        .size:           8
        .value_kind:     global_buffer
      - .actual_access:  read_only
        .address_space:  global
        .offset:         96
        .size:           8
        .value_kind:     global_buffer
      - .actual_access:  write_only
        .address_space:  global
        .offset:         104
        .size:           8
        .value_kind:     global_buffer
    .group_segment_fixed_size: 0
    .kernarg_segment_align: 8
    .kernarg_segment_size: 112
    .language:       OpenCL C
    .language_version:
      - 2
      - 0
    .max_flat_workgroup_size: 400
    .name:           fft_rtc_back_len200_factors_5_8_5_wgs_400_tpt_40_half_op_CI_CI_sbcc_twdbase6_3step
    .private_segment_fixed_size: 0
    .sgpr_count:     59
    .sgpr_spill_count: 0
    .symbol:         fft_rtc_back_len200_factors_5_8_5_wgs_400_tpt_40_half_op_CI_CI_sbcc_twdbase6_3step.kd
    .uniform_work_group_size: 1
    .uses_dynamic_stack: false
    .vgpr_count:     44
    .vgpr_spill_count: 0
    .wavefront_size: 64
amdhsa.target:   amdgcn-amd-amdhsa--gfx906
amdhsa.version:
  - 1
  - 2
...

	.end_amdgpu_metadata
